;; amdgpu-corpus repo=ROCm/rocFFT kind=compiled arch=gfx906 opt=O3
	.text
	.amdgcn_target "amdgcn-amd-amdhsa--gfx906"
	.amdhsa_code_object_version 6
	.protected	fft_rtc_fwd_len1225_factors_5_5_7_7_wgs_175_tpt_175_halfLds_dp_op_CI_CI_sbrr_dirReg ; -- Begin function fft_rtc_fwd_len1225_factors_5_5_7_7_wgs_175_tpt_175_halfLds_dp_op_CI_CI_sbrr_dirReg
	.globl	fft_rtc_fwd_len1225_factors_5_5_7_7_wgs_175_tpt_175_halfLds_dp_op_CI_CI_sbrr_dirReg
	.p2align	8
	.type	fft_rtc_fwd_len1225_factors_5_5_7_7_wgs_175_tpt_175_halfLds_dp_op_CI_CI_sbrr_dirReg,@function
fft_rtc_fwd_len1225_factors_5_5_7_7_wgs_175_tpt_175_halfLds_dp_op_CI_CI_sbrr_dirReg: ; @fft_rtc_fwd_len1225_factors_5_5_7_7_wgs_175_tpt_175_halfLds_dp_op_CI_CI_sbrr_dirReg
; %bb.0:
	s_load_dwordx4 s[16:19], s[4:5], 0x18
	s_load_dwordx4 s[12:15], s[4:5], 0x0
	;; [unrolled: 1-line block ×3, first 2 shown]
	v_mul_u32_u24_e32 v1, 0x177, v0
	v_add_u32_sdwa v6, s6, v1 dst_sel:DWORD dst_unused:UNUSED_PAD src0_sel:DWORD src1_sel:WORD_1
	s_waitcnt lgkmcnt(0)
	s_load_dwordx2 s[20:21], s[16:17], 0x0
	s_load_dwordx2 s[2:3], s[18:19], 0x0
	v_cmp_lt_u64_e64 s[0:1], s[14:15], 2
	v_mov_b32_e32 v1, 0
	v_mov_b32_e32 v4, 0
	;; [unrolled: 1-line block ×3, first 2 shown]
	s_and_b64 vcc, exec, s[0:1]
	v_mov_b32_e32 v5, 0
	s_cbranch_vccnz .LBB0_8
; %bb.1:
	s_load_dwordx2 s[0:1], s[4:5], 0x10
	s_add_u32 s6, s18, 8
	s_addc_u32 s7, s19, 0
	s_add_u32 s22, s16, 8
	v_mov_b32_e32 v4, 0
	s_addc_u32 s23, s17, 0
	v_mov_b32_e32 v5, 0
	s_waitcnt lgkmcnt(0)
	s_add_u32 s24, s0, 8
	v_mov_b32_e32 v57, v5
	s_addc_u32 s25, s1, 0
	s_mov_b64 s[26:27], 1
	v_mov_b32_e32 v56, v4
.LBB0_2:                                ; =>This Inner Loop Header: Depth=1
	s_load_dwordx2 s[28:29], s[24:25], 0x0
                                        ; implicit-def: $vgpr58_vgpr59
	s_waitcnt lgkmcnt(0)
	v_or_b32_e32 v2, s29, v7
	v_cmp_ne_u64_e32 vcc, 0, v[1:2]
	s_and_saveexec_b64 s[0:1], vcc
	s_xor_b64 s[30:31], exec, s[0:1]
	s_cbranch_execz .LBB0_4
; %bb.3:                                ;   in Loop: Header=BB0_2 Depth=1
	v_cvt_f32_u32_e32 v2, s28
	v_cvt_f32_u32_e32 v3, s29
	s_sub_u32 s0, 0, s28
	s_subb_u32 s1, 0, s29
	v_mac_f32_e32 v2, 0x4f800000, v3
	v_rcp_f32_e32 v2, v2
	v_mul_f32_e32 v2, 0x5f7ffffc, v2
	v_mul_f32_e32 v3, 0x2f800000, v2
	v_trunc_f32_e32 v3, v3
	v_mac_f32_e32 v2, 0xcf800000, v3
	v_cvt_u32_f32_e32 v3, v3
	v_cvt_u32_f32_e32 v2, v2
	v_mul_lo_u32 v8, s0, v3
	v_mul_hi_u32 v9, s0, v2
	v_mul_lo_u32 v11, s1, v2
	v_mul_lo_u32 v10, s0, v2
	v_add_u32_e32 v8, v9, v8
	v_add_u32_e32 v8, v8, v11
	v_mul_hi_u32 v9, v2, v10
	v_mul_lo_u32 v11, v2, v8
	v_mul_hi_u32 v13, v2, v8
	v_mul_hi_u32 v12, v3, v10
	v_mul_lo_u32 v10, v3, v10
	v_mul_hi_u32 v14, v3, v8
	v_add_co_u32_e32 v9, vcc, v9, v11
	v_addc_co_u32_e32 v11, vcc, 0, v13, vcc
	v_mul_lo_u32 v8, v3, v8
	v_add_co_u32_e32 v9, vcc, v9, v10
	v_addc_co_u32_e32 v9, vcc, v11, v12, vcc
	v_addc_co_u32_e32 v10, vcc, 0, v14, vcc
	v_add_co_u32_e32 v8, vcc, v9, v8
	v_addc_co_u32_e32 v9, vcc, 0, v10, vcc
	v_add_co_u32_e32 v2, vcc, v2, v8
	v_addc_co_u32_e32 v3, vcc, v3, v9, vcc
	v_mul_lo_u32 v8, s0, v3
	v_mul_hi_u32 v9, s0, v2
	v_mul_lo_u32 v10, s1, v2
	v_mul_lo_u32 v11, s0, v2
	v_add_u32_e32 v8, v9, v8
	v_add_u32_e32 v8, v8, v10
	v_mul_lo_u32 v12, v2, v8
	v_mul_hi_u32 v13, v2, v11
	v_mul_hi_u32 v14, v2, v8
	;; [unrolled: 1-line block ×3, first 2 shown]
	v_mul_lo_u32 v11, v3, v11
	v_mul_hi_u32 v9, v3, v8
	v_add_co_u32_e32 v12, vcc, v13, v12
	v_addc_co_u32_e32 v13, vcc, 0, v14, vcc
	v_mul_lo_u32 v8, v3, v8
	v_add_co_u32_e32 v11, vcc, v12, v11
	v_addc_co_u32_e32 v10, vcc, v13, v10, vcc
	v_addc_co_u32_e32 v9, vcc, 0, v9, vcc
	v_add_co_u32_e32 v8, vcc, v10, v8
	v_addc_co_u32_e32 v9, vcc, 0, v9, vcc
	v_add_co_u32_e32 v8, vcc, v2, v8
	v_addc_co_u32_e32 v9, vcc, v3, v9, vcc
	v_mad_u64_u32 v[2:3], s[0:1], v6, v9, 0
	v_mul_hi_u32 v10, v6, v8
	v_add_co_u32_e32 v10, vcc, v10, v2
	v_addc_co_u32_e32 v11, vcc, 0, v3, vcc
	v_mad_u64_u32 v[2:3], s[0:1], v7, v8, 0
	v_mad_u64_u32 v[8:9], s[0:1], v7, v9, 0
	v_add_co_u32_e32 v2, vcc, v10, v2
	v_addc_co_u32_e32 v2, vcc, v11, v3, vcc
	v_addc_co_u32_e32 v3, vcc, 0, v9, vcc
	v_add_co_u32_e32 v8, vcc, v2, v8
	v_addc_co_u32_e32 v9, vcc, 0, v3, vcc
	v_mul_lo_u32 v10, s29, v8
	v_mul_lo_u32 v11, s28, v9
	v_mad_u64_u32 v[2:3], s[0:1], s28, v8, 0
	v_add3_u32 v3, v3, v11, v10
	v_sub_u32_e32 v10, v7, v3
	v_mov_b32_e32 v11, s29
	v_sub_co_u32_e32 v2, vcc, v6, v2
	v_subb_co_u32_e64 v10, s[0:1], v10, v11, vcc
	v_subrev_co_u32_e64 v11, s[0:1], s28, v2
	v_subbrev_co_u32_e64 v10, s[0:1], 0, v10, s[0:1]
	v_cmp_le_u32_e64 s[0:1], s29, v10
	v_cndmask_b32_e64 v12, 0, -1, s[0:1]
	v_cmp_le_u32_e64 s[0:1], s28, v11
	v_cndmask_b32_e64 v11, 0, -1, s[0:1]
	v_cmp_eq_u32_e64 s[0:1], s29, v10
	v_cndmask_b32_e64 v10, v12, v11, s[0:1]
	v_add_co_u32_e64 v11, s[0:1], 2, v8
	v_addc_co_u32_e64 v12, s[0:1], 0, v9, s[0:1]
	v_add_co_u32_e64 v13, s[0:1], 1, v8
	v_addc_co_u32_e64 v14, s[0:1], 0, v9, s[0:1]
	v_subb_co_u32_e32 v3, vcc, v7, v3, vcc
	v_cmp_ne_u32_e64 s[0:1], 0, v10
	v_cmp_le_u32_e32 vcc, s29, v3
	v_cndmask_b32_e64 v10, v14, v12, s[0:1]
	v_cndmask_b32_e64 v12, 0, -1, vcc
	v_cmp_le_u32_e32 vcc, s28, v2
	v_cndmask_b32_e64 v2, 0, -1, vcc
	v_cmp_eq_u32_e32 vcc, s29, v3
	v_cndmask_b32_e32 v2, v12, v2, vcc
	v_cmp_ne_u32_e32 vcc, 0, v2
	v_cndmask_b32_e64 v2, v13, v11, s[0:1]
	v_cndmask_b32_e32 v59, v9, v10, vcc
	v_cndmask_b32_e32 v58, v8, v2, vcc
.LBB0_4:                                ;   in Loop: Header=BB0_2 Depth=1
	s_andn2_saveexec_b64 s[0:1], s[30:31]
	s_cbranch_execz .LBB0_6
; %bb.5:                                ;   in Loop: Header=BB0_2 Depth=1
	v_cvt_f32_u32_e32 v2, s28
	s_sub_i32 s30, 0, s28
	v_mov_b32_e32 v59, v1
	v_rcp_iflag_f32_e32 v2, v2
	v_mul_f32_e32 v2, 0x4f7ffffe, v2
	v_cvt_u32_f32_e32 v2, v2
	v_mul_lo_u32 v3, s30, v2
	v_mul_hi_u32 v3, v2, v3
	v_add_u32_e32 v2, v2, v3
	v_mul_hi_u32 v2, v6, v2
	v_mul_lo_u32 v3, v2, s28
	v_add_u32_e32 v8, 1, v2
	v_sub_u32_e32 v3, v6, v3
	v_subrev_u32_e32 v9, s28, v3
	v_cmp_le_u32_e32 vcc, s28, v3
	v_cndmask_b32_e32 v3, v3, v9, vcc
	v_cndmask_b32_e32 v2, v2, v8, vcc
	v_add_u32_e32 v8, 1, v2
	v_cmp_le_u32_e32 vcc, s28, v3
	v_cndmask_b32_e32 v58, v2, v8, vcc
.LBB0_6:                                ;   in Loop: Header=BB0_2 Depth=1
	s_or_b64 exec, exec, s[0:1]
	v_mul_lo_u32 v8, v59, s28
	v_mul_lo_u32 v9, v58, s29
	v_mad_u64_u32 v[2:3], s[0:1], v58, s28, 0
	s_load_dwordx2 s[0:1], s[22:23], 0x0
	s_load_dwordx2 s[28:29], s[6:7], 0x0
	v_add3_u32 v3, v3, v9, v8
	v_sub_co_u32_e32 v2, vcc, v6, v2
	v_subb_co_u32_e32 v3, vcc, v7, v3, vcc
	s_waitcnt lgkmcnt(0)
	v_mul_lo_u32 v6, s0, v3
	v_mul_lo_u32 v7, s1, v2
	v_mad_u64_u32 v[4:5], s[0:1], s0, v2, v[4:5]
	v_mul_lo_u32 v3, s28, v3
	v_mul_lo_u32 v8, s29, v2
	v_mad_u64_u32 v[56:57], s[0:1], s28, v2, v[56:57]
	s_add_u32 s26, s26, 1
	s_addc_u32 s27, s27, 0
	s_add_u32 s6, s6, 8
	v_add3_u32 v57, v8, v57, v3
	s_addc_u32 s7, s7, 0
	v_mov_b32_e32 v2, s14
	s_add_u32 s22, s22, 8
	v_mov_b32_e32 v3, s15
	s_addc_u32 s23, s23, 0
	v_cmp_ge_u64_e32 vcc, s[26:27], v[2:3]
	s_add_u32 s24, s24, 8
	v_add3_u32 v5, v7, v5, v6
	s_addc_u32 s25, s25, 0
	s_cbranch_vccnz .LBB0_9
; %bb.7:                                ;   in Loop: Header=BB0_2 Depth=1
	v_mov_b32_e32 v6, v58
	v_mov_b32_e32 v7, v59
	s_branch .LBB0_2
.LBB0_8:
	v_mov_b32_e32 v57, v5
	v_mov_b32_e32 v59, v7
	;; [unrolled: 1-line block ×4, first 2 shown]
.LBB0_9:
	s_load_dwordx2 s[0:1], s[4:5], 0x28
	s_lshl_b64 s[14:15], s[14:15], 3
	s_add_u32 s4, s18, s14
	s_addc_u32 s5, s19, s15
                                        ; implicit-def: $sgpr18
                                        ; implicit-def: $vgpr63
	s_waitcnt lgkmcnt(0)
	v_cmp_gt_u64_e32 vcc, s[0:1], v[58:59]
	v_cmp_le_u64_e64 s[0:1], s[0:1], v[58:59]
	s_and_saveexec_b64 s[6:7], s[0:1]
	s_xor_b64 s[0:1], exec, s[6:7]
; %bb.10:
	s_mov_b32 s6, 0x1767dcf
	v_mul_hi_u32 v1, v0, s6
	s_mov_b32 s18, 0
                                        ; implicit-def: $vgpr4_vgpr5
	v_mul_u32_u24_e32 v1, 0xaf, v1
	v_sub_u32_e32 v63, v0, v1
                                        ; implicit-def: $vgpr0
; %bb.11:
	s_or_saveexec_b64 s[6:7], s[0:1]
	s_load_dwordx2 s[4:5], s[4:5], 0x0
	v_mov_b32_e32 v62, s18
                                        ; implicit-def: $vgpr38_vgpr39
                                        ; implicit-def: $vgpr34_vgpr35
                                        ; implicit-def: $vgpr42_vgpr43
                                        ; implicit-def: $vgpr26_vgpr27
                                        ; implicit-def: $vgpr30_vgpr31
                                        ; implicit-def: $vgpr10_vgpr11
                                        ; implicit-def: $vgpr14_vgpr15
                                        ; implicit-def: $vgpr18_vgpr19
                                        ; implicit-def: $vgpr6_vgpr7
                                        ; implicit-def: $vgpr2_vgpr3
	s_xor_b64 exec, exec, s[6:7]
	s_cbranch_execz .LBB0_15
; %bb.12:
	s_add_u32 s0, s16, s14
	s_mov_b32 s14, 0x1767dcf
	s_addc_u32 s1, s17, s15
	v_mul_hi_u32 v1, v0, s14
	s_load_dwordx2 s[0:1], s[0:1], 0x0
                                        ; implicit-def: $vgpr28_vgpr29
                                        ; implicit-def: $vgpr40_vgpr41
                                        ; implicit-def: $vgpr32_vgpr33
                                        ; implicit-def: $vgpr36_vgpr37
	v_mul_u32_u24_e32 v1, 0xaf, v1
	v_sub_u32_e32 v63, v0, v1
	s_waitcnt lgkmcnt(0)
	v_mul_lo_u32 v8, s1, v58
	v_mad_u64_u32 v[0:1], s[14:15], s20, v63, 0
	v_mul_lo_u32 v9, s0, v59
	v_mad_u64_u32 v[2:3], s[0:1], s0, v58, 0
	v_add_u32_e32 v17, 0x2df, v63
	v_mad_u64_u32 v[6:7], s[0:1], s21, v63, v[1:2]
	v_add3_u32 v3, v3, v9, v8
	v_lshlrev_b64 v[2:3], 4, v[2:3]
	v_mov_b32_e32 v1, v6
	v_mov_b32_e32 v6, s9
	v_add_co_u32_e64 v7, s[0:1], s8, v2
	v_add_u32_e32 v8, 0xf5, v63
	v_addc_co_u32_e64 v6, s[0:1], v6, v3, s[0:1]
	v_lshlrev_b64 v[2:3], 4, v[4:5]
	v_mad_u64_u32 v[4:5], s[0:1], s20, v8, 0
	v_add_co_u32_e64 v20, s[0:1], v7, v2
	v_mov_b32_e32 v2, v5
	v_addc_co_u32_e64 v21, s[0:1], v6, v3, s[0:1]
	v_mad_u64_u32 v[2:3], s[0:1], s21, v8, v[2:3]
	v_lshlrev_b64 v[0:1], 4, v[0:1]
	v_add_co_u32_e64 v8, s[0:1], v20, v0
	v_mov_b32_e32 v5, v2
	v_add_u32_e32 v2, 0x1ea, v63
	v_addc_co_u32_e64 v9, s[0:1], v21, v1, s[0:1]
	v_mad_u64_u32 v[10:11], s[0:1], s20, v2, 0
	v_lshlrev_b64 v[0:1], 4, v[4:5]
	v_add_co_u32_e64 v12, s[0:1], v20, v0
	v_mov_b32_e32 v0, v11
	v_addc_co_u32_e64 v13, s[0:1], v21, v1, s[0:1]
	v_mad_u64_u32 v[14:15], s[0:1], s21, v2, v[0:1]
	v_mad_u64_u32 v[15:16], s[0:1], s20, v17, 0
	global_load_dwordx4 v[0:3], v[8:9], off
	global_load_dwordx4 v[4:7], v[12:13], off
	v_mov_b32_e32 v11, v14
	v_add_u32_e32 v13, 0x3d4, v63
	v_lshlrev_b64 v[8:9], 4, v[10:11]
	v_mov_b32_e32 v10, v16
	v_mad_u64_u32 v[22:23], s[0:1], s20, v13, 0
	v_mad_u64_u32 v[10:11], s[0:1], s21, v17, v[10:11]
	v_add_co_u32_e64 v8, s[0:1], v20, v8
	v_mov_b32_e32 v12, v23
	v_addc_co_u32_e64 v9, s[0:1], v21, v9, s[0:1]
	v_mov_b32_e32 v16, v10
	v_mad_u64_u32 v[23:24], s[0:1], s21, v13, v[12:13]
	v_lshlrev_b64 v[10:11], 4, v[15:16]
                                        ; implicit-def: $vgpr24_vgpr25
	v_add_co_u32_e64 v10, s[0:1], v20, v10
	v_addc_co_u32_e64 v11, s[0:1], v21, v11, s[0:1]
	global_load_dwordx4 v[16:19], v[8:9], off
	global_load_dwordx4 v[12:15], v[10:11], off
	v_lshlrev_b64 v[8:9], 4, v[22:23]
	v_add_co_u32_e64 v8, s[0:1], v20, v8
	v_addc_co_u32_e64 v9, s[0:1], v21, v9, s[0:1]
	global_load_dwordx4 v[8:11], v[8:9], off
	s_movk_i32 s0, 0x46
	v_cmp_gt_u32_e64 s[0:1], s0, v63
	s_and_saveexec_b64 s[8:9], s[0:1]
	s_cbranch_execz .LBB0_14
; %bb.13:
	v_add_u32_e32 v26, 0xaf, v63
	v_add_u32_e32 v28, 0x1a4, v63
	v_mad_u64_u32 v[22:23], s[0:1], s20, v26, 0
	v_mad_u64_u32 v[24:25], s[0:1], s20, v28, 0
	v_add_u32_e32 v39, 0x38e, v63
	v_mad_u64_u32 v[26:27], s[0:1], s21, v26, v[23:24]
	v_mov_b32_e32 v23, v26
	v_lshlrev_b64 v[22:23], 4, v[22:23]
	v_mad_u64_u32 v[25:26], s[0:1], s21, v28, v[25:26]
	v_add_co_u32_e64 v22, s[0:1], v20, v22
	v_add_u32_e32 v26, 0x299, v63
	v_addc_co_u32_e64 v23, s[0:1], v21, v23, s[0:1]
	v_mad_u64_u32 v[32:33], s[0:1], s20, v26, 0
	v_lshlrev_b64 v[24:25], 4, v[24:25]
	v_add_co_u32_e64 v34, s[0:1], v20, v24
	v_mov_b32_e32 v24, v33
	v_addc_co_u32_e64 v35, s[0:1], v21, v25, s[0:1]
	v_mad_u64_u32 v[36:37], s[0:1], s21, v26, v[24:25]
	v_mad_u64_u32 v[37:38], s[0:1], s20, v39, 0
	v_mov_b32_e32 v33, v36
	global_load_dwordx4 v[28:31], v[22:23], off
	global_load_dwordx4 v[24:27], v[34:35], off
	v_lshlrev_b64 v[22:23], 4, v[32:33]
	v_mov_b32_e32 v32, v38
	v_add_u32_e32 v35, 0x483, v63
	v_mad_u64_u32 v[32:33], s[0:1], s21, v39, v[32:33]
	v_mad_u64_u32 v[44:45], s[0:1], s20, v35, 0
	v_add_co_u32_e64 v22, s[0:1], v20, v22
	v_mov_b32_e32 v38, v32
	v_mov_b32_e32 v34, v45
	v_addc_co_u32_e64 v23, s[0:1], v21, v23, s[0:1]
	v_lshlrev_b64 v[32:33], 4, v[37:38]
	v_mad_u64_u32 v[36:37], s[0:1], s21, v35, v[34:35]
	v_add_co_u32_e64 v37, s[0:1], v20, v32
	v_mov_b32_e32 v45, v36
	v_addc_co_u32_e64 v38, s[0:1], v21, v33, s[0:1]
	global_load_dwordx4 v[40:43], v[22:23], off
	global_load_dwordx4 v[32:35], v[37:38], off
	v_lshlrev_b64 v[22:23], 4, v[44:45]
	v_add_co_u32_e64 v20, s[0:1], v20, v22
	v_addc_co_u32_e64 v21, s[0:1], v21, v23, s[0:1]
	global_load_dwordx4 v[36:39], v[20:21], off
.LBB0_14:
	s_or_b64 exec, exec, s[8:9]
	v_mov_b32_e32 v62, v63
.LBB0_15:
	s_or_b64 exec, exec, s[6:7]
	s_waitcnt vmcnt(0)
	v_add_f64 v[20:21], v[36:37], v[24:25]
	v_add_f64 v[22:23], v[42:43], -v[34:35]
	s_mov_b32 s0, 0x134454ff
	s_mov_b32 s1, 0x3fee6f0e
	;; [unrolled: 1-line block ×4, first 2 shown]
	v_add_f64 v[44:45], v[40:41], -v[24:25]
	v_add_f64 v[46:47], v[32:33], -v[36:37]
	v_fma_f64 v[20:21], v[20:21], -0.5, v[28:29]
	v_add_f64 v[48:49], v[26:27], -v[38:39]
	v_add_f64 v[50:51], v[12:13], v[16:17]
	v_add_f64 v[64:65], v[4:5], v[0:1]
	s_mov_b32 s8, 0x4755a5e
	s_mov_b32 s9, 0x3fe2cf23
	;; [unrolled: 1-line block ×4, first 2 shown]
	v_fma_f64 v[60:61], v[22:23], s[6:7], v[20:21]
	v_fma_f64 v[20:21], v[22:23], s[0:1], v[20:21]
	v_add_f64 v[52:53], v[4:5], -v[16:17]
	v_add_f64 v[54:55], v[8:9], -v[12:13]
	;; [unrolled: 1-line block ×3, first 2 shown]
	v_fma_f64 v[50:51], v[50:51], -0.5, v[0:1]
	v_add_f64 v[46:47], v[46:47], v[44:45]
	v_add_f64 v[64:65], v[16:17], v[64:65]
	v_fma_f64 v[44:45], v[48:49], s[8:9], v[60:61]
	v_fma_f64 v[20:21], v[48:49], s[14:15], v[20:21]
	v_add_f64 v[60:61], v[8:9], v[4:5]
	v_add_f64 v[72:73], v[32:33], v[40:41]
	s_mov_b32 s16, 0x372fe950
	s_mov_b32 s17, 0x3fd3c6ef
	v_add_f64 v[68:69], v[18:19], -v[14:15]
	v_fma_f64 v[70:71], v[66:67], s[0:1], v[50:51]
	v_fma_f64 v[44:45], v[46:47], s[16:17], v[44:45]
	;; [unrolled: 1-line block ×3, first 2 shown]
	v_fma_f64 v[0:1], v[60:61], -0.5, v[0:1]
	v_add_f64 v[20:21], v[54:55], v[52:53]
	v_add_f64 v[52:53], v[12:13], v[64:65]
	;; [unrolled: 1-line block ×3, first 2 shown]
	v_fma_f64 v[28:29], v[72:73], -0.5, v[28:29]
	v_fma_f64 v[54:55], v[68:69], s[8:9], v[70:71]
	v_add_f64 v[60:61], v[16:17], -v[4:5]
	v_add_f64 v[70:71], v[12:13], -v[8:9]
	v_fma_f64 v[72:73], v[68:69], s[6:7], v[0:1]
	v_fma_f64 v[0:1], v[68:69], s[0:1], v[0:1]
	;; [unrolled: 1-line block ×3, first 2 shown]
	v_add_f64 v[74:75], v[24:25], -v[40:41]
	v_add_f64 v[76:77], v[36:37], -v[32:33]
	v_add_f64 v[64:65], v[40:41], v[64:65]
	v_fma_f64 v[78:79], v[48:49], s[0:1], v[28:29]
	v_fma_f64 v[28:29], v[48:49], s[6:7], v[28:29]
	v_add_f64 v[48:49], v[70:71], v[60:61]
	v_fma_f64 v[60:61], v[66:67], s[8:9], v[72:73]
	v_fma_f64 v[0:1], v[66:67], s[14:15], v[0:1]
	;; [unrolled: 1-line block ×3, first 2 shown]
	v_add_f64 v[66:67], v[76:77], v[74:75]
	v_add_f64 v[64:65], v[32:33], v[64:65]
	v_fma_f64 v[68:69], v[22:23], s[8:9], v[78:79]
	v_fma_f64 v[28:29], v[22:23], s[14:15], v[28:29]
	v_add_f64 v[52:53], v[8:9], v[52:53]
	v_fma_f64 v[54:55], v[20:21], s[16:17], v[54:55]
	v_fma_f64 v[60:61], v[48:49], s[16:17], v[60:61]
	;; [unrolled: 1-line block ×4, first 2 shown]
	v_add_f64 v[20:21], v[36:37], v[64:65]
	v_fma_f64 v[22:23], v[66:67], s[16:17], v[68:69]
	v_fma_f64 v[28:29], v[66:67], s[16:17], v[28:29]
	s_movk_i32 s0, 0x46
	v_mad_u32_u24 v65, v63, 40, 0
	v_cmp_gt_u32_e64 s[0:1], s0, v63
	ds_write2_b64 v65, v[52:53], v[54:55] offset1:1
	ds_write2_b64 v65, v[60:61], v[0:1] offset0:2 offset1:3
	ds_write_b64 v65, v[48:49] offset:32
	s_and_saveexec_b64 s[6:7], s[0:1]
	s_cbranch_execz .LBB0_17
; %bb.16:
	v_add_u32_e32 v0, 0x1b58, v65
	ds_write2_b64 v0, v[20:21], v[22:23] offset1:1
	v_add_u32_e32 v0, 0x1b68, v65
	ds_write2_b64 v0, v[44:45], v[46:47] offset1:1
	ds_write_b64 v65, v[28:29] offset:7032
.LBB0_17:
	s_or_b64 exec, exec, s[6:7]
	v_lshlrev_b32_e32 v0, 5, v63
	v_sub_u32_e32 v1, v65, v0
	v_add_u32_e32 v52, 0xf00, v1
	s_waitcnt lgkmcnt(0)
	s_barrier
	ds_read2_b64 v[48:51], v1 offset1:245
	ds_read2_b64 v[52:55], v52 offset0:10 offset1:255
	ds_read_b64 v[60:61], v1 offset:7840
	v_sub_u32_e32 v0, 0, v0
	v_add_u32_e32 v64, v65, v0
	s_and_saveexec_b64 s[6:7], s[0:1]
	s_cbranch_execz .LBB0_19
; %bb.18:
	v_add_u32_e32 v0, 0x540, v64
	ds_read2_b64 v[20:23], v0 offset0:7 offset1:252
	v_add_u32_e32 v0, 0x1480, v64
	ds_read2_b64 v[44:47], v0 offset0:9 offset1:254
	ds_read_b64 v[28:29], v64 offset:9240
.LBB0_19:
	s_or_b64 exec, exec, s[6:7]
	v_add_f64 v[0:1], v[14:15], v[18:19]
	v_add_f64 v[66:67], v[6:7], v[2:3]
	v_add_f64 v[4:5], v[4:5], -v[8:9]
	s_mov_b32 s6, 0x134454ff
	s_mov_b32 s7, 0xbfee6f0e
	v_add_f64 v[8:9], v[16:17], -v[12:13]
	v_add_f64 v[12:13], v[6:7], -v[18:19]
	;; [unrolled: 1-line block ×3, first 2 shown]
	v_fma_f64 v[0:1], v[0:1], -0.5, v[2:3]
	v_add_f64 v[66:67], v[18:19], v[66:67]
	s_mov_b32 s8, 0x4755a5e
	s_mov_b32 s9, 0xbfe2cf23
	v_add_f64 v[68:69], v[10:11], v[6:7]
	v_add_f64 v[6:7], v[18:19], -v[6:7]
	v_add_f64 v[18:19], v[14:15], -v[10:11]
	v_add_f64 v[12:13], v[16:17], v[12:13]
	v_fma_f64 v[70:71], v[4:5], s[6:7], v[0:1]
	v_add_f64 v[14:15], v[14:15], v[66:67]
	v_add_f64 v[66:67], v[34:35], v[42:43]
	;; [unrolled: 1-line block ×3, first 2 shown]
	s_mov_b32 s14, 0x372fe950
	s_mov_b32 s15, 0x3fd3c6ef
	;; [unrolled: 1-line block ×4, first 2 shown]
	v_fma_f64 v[16:17], v[8:9], s[8:9], v[70:71]
	v_fma_f64 v[2:3], v[68:69], -0.5, v[2:3]
	v_add_f64 v[68:69], v[26:27], v[30:31]
	v_fma_f64 v[0:1], v[4:5], s[16:17], v[0:1]
	v_add_f64 v[14:15], v[10:11], v[14:15]
	v_fma_f64 v[10:11], v[66:67], -0.5, v[30:31]
	v_add_f64 v[32:33], v[40:41], -v[32:33]
	v_fma_f64 v[30:31], v[72:73], -0.5, v[30:31]
	v_fma_f64 v[74:75], v[12:13], s[14:15], v[16:17]
	v_add_f64 v[16:17], v[24:25], -v[36:37]
	s_mov_b32 s19, 0x3fe2cf23
	s_mov_b32 s18, s8
	v_fma_f64 v[70:71], v[8:9], s[16:17], v[2:3]
	v_fma_f64 v[0:1], v[8:9], s[18:19], v[0:1]
	v_add_f64 v[6:7], v[18:19], v[6:7]
	v_fma_f64 v[2:3], v[8:9], s[6:7], v[2:3]
	v_add_f64 v[8:9], v[42:43], v[68:69]
	v_fma_f64 v[18:19], v[16:17], s[6:7], v[10:11]
	v_add_f64 v[36:37], v[26:27], -v[42:43]
	v_add_f64 v[40:41], v[38:39], -v[34:35]
	v_fma_f64 v[10:11], v[16:17], s[16:17], v[10:11]
	v_fma_f64 v[66:67], v[32:33], s[16:17], v[30:31]
	v_add_f64 v[26:27], v[42:43], -v[26:27]
	v_add_f64 v[42:43], v[34:35], -v[38:39]
	v_fma_f64 v[30:31], v[32:33], s[6:7], v[30:31]
	v_fma_f64 v[24:25], v[4:5], s[8:9], v[70:71]
	;; [unrolled: 1-line block ×3, first 2 shown]
	v_add_f64 v[4:5], v[34:35], v[8:9]
	v_fma_f64 v[8:9], v[32:33], s[8:9], v[18:19]
	v_add_f64 v[18:19], v[40:41], v[36:37]
	v_fma_f64 v[10:11], v[32:33], s[18:19], v[10:11]
	v_fma_f64 v[32:33], v[16:17], s[8:9], v[66:67]
	v_add_f64 v[26:27], v[42:43], v[26:27]
	v_fma_f64 v[30:31], v[16:17], s[18:19], v[30:31]
	v_fma_f64 v[12:13], v[12:13], s[14:15], v[0:1]
	;; [unrolled: 1-line block ×4, first 2 shown]
	v_add_f64 v[0:1], v[38:39], v[4:5]
	v_fma_f64 v[2:3], v[18:19], s[14:15], v[8:9]
	v_fma_f64 v[16:17], v[18:19], s[14:15], v[10:11]
	;; [unrolled: 1-line block ×4, first 2 shown]
	s_waitcnt lgkmcnt(0)
	s_barrier
	ds_write2_b64 v65, v[14:15], v[74:75] offset1:1
	ds_write2_b64 v65, v[24:25], v[6:7] offset0:2 offset1:3
	ds_write_b64 v65, v[12:13] offset:32
	s_and_saveexec_b64 s[6:7], s[0:1]
	s_cbranch_execz .LBB0_21
; %bb.20:
	v_add_u32_e32 v4, 0x1b58, v65
	ds_write2_b64 v4, v[0:1], v[2:3] offset1:1
	v_add_u32_e32 v4, 0x1b68, v65
	ds_write2_b64 v4, v[8:9], v[10:11] offset1:1
	ds_write_b64 v65, v[16:17] offset:7032
.LBB0_21:
	s_or_b64 exec, exec, s[6:7]
	v_add_u32_e32 v12, 0xf00, v64
	s_waitcnt lgkmcnt(0)
	s_barrier
	ds_read2_b64 v[4:7], v64 offset1:245
	ds_read2_b64 v[12:15], v12 offset0:10 offset1:255
	ds_read_b64 v[18:19], v64 offset:7840
	s_and_saveexec_b64 s[6:7], s[0:1]
	s_cbranch_execz .LBB0_23
; %bb.22:
	v_add_u32_e32 v0, 0x540, v64
	v_add_u32_e32 v8, 0x1480, v64
	ds_read2_b64 v[0:3], v0 offset0:7 offset1:252
	ds_read2_b64 v[8:11], v8 offset0:9 offset1:254
	ds_read_b64 v[16:17], v64 offset:9240
.LBB0_23:
	s_or_b64 exec, exec, s[6:7]
	s_movk_i32 s22, 0xcd
	v_mul_lo_u16_sdwa v24, v63, s22 dst_sel:DWORD dst_unused:UNUSED_PAD src0_sel:BYTE_0 src1_sel:DWORD
	v_lshrrev_b16_e32 v86, 10, v24
	v_mul_lo_u16_e32 v24, 5, v86
	v_sub_u16_e32 v87, v63, v24
	v_mov_b32_e32 v24, 6
	v_lshlrev_b32_sdwa v30, v24, v87 dst_sel:DWORD dst_unused:UNUSED_PAD src0_sel:DWORD src1_sel:BYTE_0
	global_load_dwordx4 v[24:27], v30, s[12:13] offset:16
	global_load_dwordx4 v[34:37], v30, s[12:13] offset:32
	;; [unrolled: 1-line block ×3, first 2 shown]
	global_load_dwordx4 v[66:69], v30, s[12:13]
	v_add_u32_e32 v65, 0xaf, v63
	s_mov_b32 s6, 0xcccd
	v_mul_u32_u24_sdwa v31, v65, s6 dst_sel:DWORD dst_unused:UNUSED_PAD src0_sel:WORD_0 src1_sel:DWORD
	v_lshrrev_b32_e32 v31, 18, v31
	v_mul_lo_u16_e32 v31, 5, v31
	v_sub_u16_e32 v88, v65, v31
	v_lshlrev_b32_e32 v42, 6, v88
	global_load_dwordx4 v[70:73], v42, s[12:13]
	global_load_dwordx4 v[74:77], v42, s[12:13] offset:16
	global_load_dwordx4 v[78:81], v42, s[12:13] offset:32
	global_load_dwordx4 v[82:85], v42, s[12:13] offset:48
	s_mov_b32 s14, 0x134454ff
	s_mov_b32 s15, 0x3fee6f0e
	;; [unrolled: 1-line block ×10, first 2 shown]
	s_waitcnt vmcnt(0) lgkmcnt(0)
	s_barrier
	v_mul_f64 v[30:31], v[12:13], v[26:27]
	v_mul_f64 v[32:33], v[52:53], v[26:27]
	v_fma_f64 v[26:27], v[52:53], v[24:25], -v[30:31]
	v_fma_f64 v[12:13], v[12:13], v[24:25], v[32:33]
	v_mul_f64 v[24:25], v[14:15], v[36:37]
	v_mul_f64 v[30:31], v[18:19], v[40:41]
	;; [unrolled: 1-line block ×3, first 2 shown]
	v_fma_f64 v[32:33], v[54:55], v[34:35], -v[24:25]
	v_mul_f64 v[24:25], v[54:55], v[36:37]
	v_mul_f64 v[36:37], v[50:51], v[68:69]
	;; [unrolled: 1-line block ×3, first 2 shown]
	v_fma_f64 v[14:15], v[14:15], v[34:35], v[24:25]
	v_mul_f64 v[34:35], v[6:7], v[68:69]
	v_mul_f64 v[24:25], v[60:61], v[40:41]
	v_fma_f64 v[40:41], v[60:61], v[38:39], -v[30:31]
	v_mul_f64 v[30:31], v[22:23], v[72:73]
	v_mul_f64 v[60:61], v[10:11], v[80:81]
	v_fma_f64 v[6:7], v[6:7], v[66:67], v[36:37]
	v_fma_f64 v[36:37], v[22:23], v[70:71], -v[52:53]
	v_fma_f64 v[22:23], v[8:9], v[74:75], v[54:55]
	v_fma_f64 v[42:43], v[50:51], v[66:67], -v[34:35]
	v_fma_f64 v[38:39], v[18:19], v[38:39], v[24:25]
	v_mul_f64 v[24:25], v[8:9], v[76:77]
	v_fma_f64 v[18:19], v[2:3], v[70:71], v[30:31]
	v_add_f64 v[2:3], v[26:27], v[32:33]
	v_mul_f64 v[34:35], v[46:47], v[80:81]
	v_fma_f64 v[30:31], v[46:47], v[78:79], -v[60:61]
	v_add_f64 v[50:51], v[40:41], -v[32:33]
	v_add_f64 v[8:9], v[42:43], v[40:41]
	v_add_f64 v[46:47], v[42:43], -v[26:27]
	v_fma_f64 v[24:25], v[44:45], v[74:75], -v[24:25]
	v_add_f64 v[44:45], v[48:49], v[42:43]
	v_add_f64 v[52:53], v[26:27], -v[42:43]
	v_add_f64 v[54:55], v[32:33], -v[40:41]
	v_fma_f64 v[2:3], v[2:3], -0.5, v[48:49]
	v_add_f64 v[60:61], v[12:13], -v[14:15]
	v_fma_f64 v[8:9], v[8:9], -0.5, v[48:49]
	v_add_f64 v[48:49], v[6:7], -v[38:39]
	v_add_f64 v[46:47], v[46:47], v[50:51]
	v_add_f64 v[44:45], v[44:45], v[26:27]
	v_fma_f64 v[34:35], v[10:11], v[78:79], v[34:35]
	v_add_f64 v[50:51], v[52:53], v[54:55]
	v_mov_b32_e32 v66, 3
	v_mul_u32_u24_e32 v67, 0xc8, v86
	v_fma_f64 v[54:55], v[60:61], s[18:19], v[8:9]
	v_fma_f64 v[52:53], v[48:49], s[14:15], v[2:3]
	;; [unrolled: 1-line block ×4, first 2 shown]
	v_add_f64 v[44:45], v[44:45], v[32:33]
	v_lshlrev_b32_sdwa v66, v66, v87 dst_sel:DWORD dst_unused:UNUSED_PAD src0_sel:DWORD src1_sel:BYTE_0
	v_fma_f64 v[54:55], v[48:49], s[8:9], v[54:55]
	v_fma_f64 v[52:53], v[60:61], s[8:9], v[52:53]
	;; [unrolled: 1-line block ×4, first 2 shown]
	v_mul_f64 v[48:49], v[16:17], v[84:85]
	v_mul_f64 v[60:61], v[28:29], v[84:85]
	v_add_f64 v[10:11], v[44:45], v[40:41]
	v_add3_u32 v45, 0, v67, v66
	v_fma_f64 v[54:55], v[50:51], s[6:7], v[54:55]
	v_fma_f64 v[52:53], v[46:47], s[6:7], v[52:53]
	;; [unrolled: 1-line block ×4, first 2 shown]
	v_fma_f64 v[28:29], v[28:29], v[82:83], -v[48:49]
	v_fma_f64 v[16:17], v[16:17], v[82:83], v[60:61]
	v_lshlrev_b32_e32 v44, 3, v88
	ds_write2_b64 v45, v[10:11], v[52:53] offset1:5
	ds_write2_b64 v45, v[54:55], v[8:9] offset0:10 offset1:15
	ds_write_b64 v45, v[2:3] offset:160
	s_and_saveexec_b64 s[20:21], s[0:1]
	s_cbranch_execz .LBB0_25
; %bb.24:
	v_add_f64 v[8:9], v[24:25], v[30:31]
	v_add_f64 v[2:3], v[36:37], v[28:29]
	v_add_f64 v[46:47], v[18:19], -v[16:17]
	v_add_f64 v[48:49], v[20:21], v[36:37]
	v_add_f64 v[10:11], v[22:23], -v[34:35]
	v_add_f64 v[50:51], v[30:31], -v[28:29]
	;; [unrolled: 1-line block ×4, first 2 shown]
	v_fma_f64 v[8:9], v[8:9], -0.5, v[20:21]
	v_fma_f64 v[2:3], v[2:3], -0.5, v[20:21]
	v_add_f64 v[20:21], v[24:25], -v[36:37]
	v_add_f64 v[48:49], v[48:49], v[24:25]
	v_fma_f64 v[66:67], v[46:47], s[14:15], v[8:9]
	v_fma_f64 v[60:61], v[10:11], s[14:15], v[2:3]
	v_fma_f64 v[2:3], v[10:11], s[18:19], v[2:3]
	v_fma_f64 v[8:9], v[46:47], s[18:19], v[8:9]
	v_add_f64 v[20:21], v[20:21], v[50:51]
	v_add_f64 v[50:51], v[52:53], v[54:55]
	;; [unrolled: 1-line block ×3, first 2 shown]
	v_fma_f64 v[54:55], v[10:11], s[8:9], v[66:67]
	v_fma_f64 v[52:53], v[46:47], s[16:17], v[60:61]
	;; [unrolled: 1-line block ×4, first 2 shown]
	v_add_f64 v[10:11], v[48:49], v[28:29]
	v_fma_f64 v[48:49], v[50:51], s[6:7], v[54:55]
	v_fma_f64 v[46:47], v[20:21], s[6:7], v[52:53]
	;; [unrolled: 1-line block ×4, first 2 shown]
	v_mul_lo_u16_sdwa v20, v65, s22 dst_sel:DWORD dst_unused:UNUSED_PAD src0_sel:BYTE_0 src1_sel:DWORD
	v_lshrrev_b16_e32 v20, 10, v20
	v_mul_u32_u24_e32 v20, 0xc8, v20
	v_add3_u32 v20, 0, v20, v44
	ds_write2_b64 v20, v[10:11], v[48:49] offset1:5
	ds_write2_b64 v20, v[2:3], v[46:47] offset0:10 offset1:15
	ds_write_b64 v20, v[8:9] offset:160
.LBB0_25:
	s_or_b64 exec, exec, s[20:21]
	v_add_f64 v[2:3], v[12:13], v[14:15]
	v_add_f64 v[8:9], v[6:7], v[38:39]
	v_add_f64 v[10:11], v[4:5], v[6:7]
	v_add_f64 v[20:21], v[42:43], -v[40:41]
	v_add_f64 v[26:27], v[26:27], -v[32:33]
	;; [unrolled: 1-line block ×5, first 2 shown]
	v_fma_f64 v[2:3], v[2:3], -0.5, v[4:5]
	v_fma_f64 v[4:5], v[8:9], -0.5, v[4:5]
	v_add_f64 v[8:9], v[38:39], -v[14:15]
	v_add_f64 v[10:11], v[10:11], v[12:13]
	s_waitcnt lgkmcnt(0)
	s_barrier
	v_add_f64 v[6:7], v[6:7], v[40:41]
	v_fma_f64 v[12:13], v[20:21], s[18:19], v[2:3]
	v_fma_f64 v[2:3], v[20:21], s[14:15], v[2:3]
	;; [unrolled: 1-line block ×4, first 2 shown]
	v_add_f64 v[8:9], v[32:33], v[8:9]
	v_add_f64 v[10:11], v[10:11], v[14:15]
	v_fma_f64 v[14:15], v[26:27], s[16:17], v[12:13]
	v_fma_f64 v[2:3], v[26:27], s[8:9], v[2:3]
	;; [unrolled: 1-line block ×4, first 2 shown]
	v_add_u32_e32 v21, 0xa00, v64
	v_add_f64 v[32:33], v[10:11], v[38:39]
	v_lshl_add_u32 v20, v63, 3, 0
	ds_read_b64 v[12:13], v64 offset:8400
	v_fma_f64 v[38:39], v[8:9], s[6:7], v[14:15]
	v_fma_f64 v[40:41], v[8:9], s[6:7], v[2:3]
	;; [unrolled: 1-line block ×4, first 2 shown]
	v_add_u32_e32 v26, 0x1400, v64
	ds_read_b64 v[10:11], v64
	ds_read_b64 v[14:15], v20 offset:1400
	ds_read2_b64 v[6:9], v21 offset0:30 offset1:205
	ds_read2_b64 v[2:5], v26 offset0:60 offset1:235
	s_waitcnt lgkmcnt(0)
	s_barrier
	ds_write2_b64 v45, v[32:33], v[38:39] offset1:5
	ds_write2_b64 v45, v[42:43], v[46:47] offset0:10 offset1:15
	ds_write_b64 v45, v[40:41] offset:160
	s_and_saveexec_b64 s[6:7], s[0:1]
	s_cbranch_execz .LBB0_27
; %bb.26:
	v_add_f64 v[32:33], v[22:23], v[34:35]
	v_add_f64 v[27:28], v[36:37], -v[28:29]
	v_add_f64 v[36:37], v[18:19], v[16:17]
	v_add_f64 v[38:39], v[0:1], v[18:19]
	v_add_f64 v[24:25], v[24:25], -v[30:31]
	s_mov_b32 s0, 0x134454ff
	s_mov_b32 s1, 0xbfee6f0e
	;; [unrolled: 1-line block ×3, first 2 shown]
	v_fma_f64 v[29:30], v[32:33], -0.5, v[0:1]
	v_add_f64 v[31:32], v[18:19], -v[22:23]
	v_fma_f64 v[0:1], v[36:37], -0.5, v[0:1]
	v_add_f64 v[36:37], v[16:17], -v[34:35]
	v_add_f64 v[18:19], v[22:23], -v[18:19]
	v_add_f64 v[22:23], v[38:39], v[22:23]
	s_mov_b32 s14, s0
	v_add_f64 v[40:41], v[34:35], -v[16:17]
	v_fma_f64 v[38:39], v[27:28], s[0:1], v[29:30]
	v_fma_f64 v[29:30], v[27:28], s[14:15], v[29:30]
	;; [unrolled: 1-line block ×4, first 2 shown]
	s_mov_b32 s8, 0x4755a5e
	s_mov_b32 s9, 0xbfe2cf23
	v_add_f64 v[31:32], v[31:32], v[36:37]
	v_add_f64 v[22:23], v[22:23], v[34:35]
	v_fma_f64 v[33:34], v[24:25], s[8:9], v[38:39]
	s_mov_b32 s1, 0x3fe2cf23
	s_mov_b32 s0, s8
	v_fma_f64 v[35:36], v[27:28], s[8:9], v[42:43]
	v_add_f64 v[18:19], v[18:19], v[40:41]
	v_fma_f64 v[0:1], v[27:28], s[0:1], v[0:1]
	v_fma_f64 v[24:25], v[24:25], s[0:1], v[29:30]
	s_mov_b32 s0, 0x372fe950
	s_mov_b32 s1, 0x3fd3c6ef
	v_add_f64 v[16:17], v[22:23], v[16:17]
	v_fma_f64 v[22:23], v[31:32], s[0:1], v[33:34]
	v_fma_f64 v[27:28], v[18:19], s[0:1], v[35:36]
	;; [unrolled: 1-line block ×4, first 2 shown]
	s_movk_i32 s0, 0xcd
	v_mul_lo_u16_sdwa v24, v65, s0 dst_sel:DWORD dst_unused:UNUSED_PAD src0_sel:BYTE_0 src1_sel:DWORD
	v_lshrrev_b16_e32 v24, 10, v24
	v_mul_u32_u24_e32 v24, 0xc8, v24
	v_add3_u32 v24, 0, v24, v44
	ds_write2_b64 v24, v[16:17], v[22:23] offset1:5
	ds_write2_b64 v24, v[27:28], v[0:1] offset0:10 offset1:15
	ds_write_b64 v24, v[18:19] offset:160
.LBB0_27:
	s_or_b64 exec, exec, s[6:7]
	v_mov_b32_e32 v0, 41
	v_mul_lo_u16_sdwa v0, v63, v0 dst_sel:DWORD dst_unused:UNUSED_PAD src0_sel:BYTE_0 src1_sel:DWORD
	v_lshrrev_b16_e32 v55, 10, v0
	v_mul_lo_u16_e32 v0, 25, v55
	v_sub_u16_e32 v60, v63, v0
	v_mov_b32_e32 v0, 6
	v_mul_u32_u24_sdwa v0, v60, v0 dst_sel:DWORD dst_unused:UNUSED_PAD src0_sel:BYTE_0 src1_sel:DWORD
	v_lshlrev_b32_e32 v0, 4, v0
	s_waitcnt lgkmcnt(0)
	s_barrier
	global_load_dwordx4 v[16:19], v0, s[12:13] offset:320
	global_load_dwordx4 v[22:25], v0, s[12:13] offset:336
	;; [unrolled: 1-line block ×6, first 2 shown]
	ds_read_b64 v[0:1], v20 offset:1400
	ds_read2_b64 v[43:46], v21 offset0:30 offset1:205
	ds_read2_b64 v[47:50], v26 offset0:60 offset1:235
	ds_read_b64 v[51:52], v64
	ds_read_b64 v[53:54], v64 offset:8400
	v_mov_b32_e32 v61, 3
	v_mul_u32_u24_e32 v55, 0x578, v55
	v_lshlrev_b32_sdwa v60, v61, v60 dst_sel:DWORD dst_unused:UNUSED_PAD src0_sel:DWORD src1_sel:BYTE_0
	v_add3_u32 v55, 0, v55, v60
	s_mov_b32 s6, 0x37e14327
	s_mov_b32 s0, 0x36b3c0b5
	;; [unrolled: 1-line block ×20, first 2 shown]
	s_waitcnt vmcnt(0) lgkmcnt(0)
	s_barrier
	v_mul_f64 v[60:61], v[0:1], v[18:19]
	v_mul_f64 v[65:66], v[43:44], v[24:25]
	v_mul_f64 v[18:19], v[14:15], v[18:19]
	v_mul_f64 v[24:25], v[6:7], v[24:25]
	v_mul_f64 v[71:72], v[53:54], v[37:38]
	v_mul_f64 v[73:74], v[49:50], v[41:42]
	v_mul_f64 v[37:38], v[12:13], v[37:38]
	v_mul_f64 v[41:42], v[4:5], v[41:42]
	v_mul_f64 v[67:68], v[45:46], v[29:30]
	v_mul_f64 v[29:30], v[8:9], v[29:30]
	v_mul_f64 v[69:70], v[47:48], v[33:34]
	v_mul_f64 v[33:34], v[2:3], v[33:34]
	v_fma_f64 v[14:15], v[14:15], v[16:17], -v[60:61]
	v_fma_f64 v[6:7], v[6:7], v[22:23], -v[65:66]
	;; [unrolled: 1-line block ×4, first 2 shown]
	v_fma_f64 v[0:1], v[0:1], v[16:17], v[18:19]
	v_fma_f64 v[16:17], v[43:44], v[22:23], v[24:25]
	v_fma_f64 v[18:19], v[53:54], v[35:36], v[37:38]
	v_fma_f64 v[24:25], v[49:50], v[39:40], v[41:42]
	v_fma_f64 v[8:9], v[8:9], v[27:28], -v[67:68]
	v_fma_f64 v[22:23], v[45:46], v[27:28], v[29:30]
	v_fma_f64 v[2:3], v[2:3], v[31:32], -v[69:70]
	v_fma_f64 v[27:28], v[47:48], v[31:32], v[33:34]
	v_add_f64 v[29:30], v[14:15], v[12:13]
	v_add_f64 v[12:13], v[14:15], -v[12:13]
	v_add_f64 v[14:15], v[6:7], v[4:5]
	v_add_f64 v[31:32], v[0:1], v[18:19]
	v_add_f64 v[0:1], v[0:1], -v[18:19]
	v_add_f64 v[18:19], v[16:17], v[24:25]
	v_add_f64 v[4:5], v[6:7], -v[4:5]
	v_add_f64 v[6:7], v[16:17], -v[24:25]
	v_add_f64 v[16:17], v[8:9], v[2:3]
	v_add_f64 v[24:25], v[22:23], v[27:28]
	v_add_f64 v[2:3], v[2:3], -v[8:9]
	v_add_f64 v[8:9], v[27:28], -v[22:23]
	v_add_f64 v[22:23], v[14:15], v[29:30]
	v_add_f64 v[27:28], v[18:19], v[31:32]
	v_add_f64 v[33:34], v[14:15], -v[29:30]
	v_add_f64 v[35:36], v[18:19], -v[31:32]
	;; [unrolled: 1-line block ×6, first 2 shown]
	v_add_f64 v[39:40], v[8:9], v[6:7]
	v_add_f64 v[43:44], v[8:9], -v[6:7]
	v_add_f64 v[6:7], v[6:7], -v[0:1]
	v_add_f64 v[16:17], v[16:17], v[22:23]
	v_add_f64 v[22:23], v[24:25], v[27:28]
	;; [unrolled: 1-line block ×3, first 2 shown]
	v_add_f64 v[41:42], v[2:3], -v[4:5]
	v_add_f64 v[8:9], v[0:1], -v[8:9]
	v_add_f64 v[4:5], v[4:5], -v[12:13]
	v_add_f64 v[0:1], v[39:40], v[0:1]
	v_mul_f64 v[24:25], v[29:30], s[6:7]
	v_mul_f64 v[27:28], v[31:32], s[6:7]
	;; [unrolled: 1-line block ×5, first 2 shown]
	v_add_f64 v[10:11], v[10:11], v[16:17]
	v_mul_f64 v[29:30], v[14:15], s[0:1]
	v_add_f64 v[45:46], v[51:52], v[22:23]
	v_add_f64 v[2:3], v[12:13], -v[2:3]
	v_add_f64 v[12:13], v[37:38], v[12:13]
	v_mul_f64 v[37:38], v[41:42], s[16:17]
	v_mul_f64 v[41:42], v[4:5], s[8:9]
	v_fma_f64 v[14:15], v[14:15], s[0:1], v[24:25]
	v_fma_f64 v[18:19], v[18:19], s[0:1], v[27:28]
	v_fma_f64 v[31:32], v[35:36], s[18:19], -v[31:32]
	v_fma_f64 v[27:28], v[35:36], s[20:21], -v[27:28]
	v_fma_f64 v[35:36], v[8:9], s[22:23], v[39:40]
	v_fma_f64 v[6:7], v[6:7], s[8:9], -v[39:40]
	v_fma_f64 v[8:9], v[8:9], s[26:27], -v[43:44]
	;; [unrolled: 3-line block ×3, first 2 shown]
	v_fma_f64 v[22:23], v[22:23], s[14:15], v[45:46]
	v_fma_f64 v[33:34], v[2:3], s[22:23], v[37:38]
	v_fma_f64 v[2:3], v[2:3], s[26:27], -v[41:42]
	v_fma_f64 v[4:5], v[4:5], s[8:9], -v[37:38]
	v_fma_f64 v[35:36], v[0:1], s[24:25], v[35:36]
	v_fma_f64 v[6:7], v[0:1], s[24:25], v[6:7]
	v_fma_f64 v[0:1], v[0:1], s[24:25], v[8:9]
	v_add_f64 v[8:9], v[14:15], v[16:17]
	v_add_f64 v[14:15], v[18:19], v[22:23]
	;; [unrolled: 1-line block ×4, first 2 shown]
	v_fma_f64 v[33:34], v[12:13], s[24:25], v[33:34]
	v_fma_f64 v[2:3], v[12:13], s[24:25], v[2:3]
	v_add_f64 v[24:25], v[27:28], v[22:23]
	v_fma_f64 v[4:5], v[12:13], s[24:25], v[4:5]
	v_add_f64 v[12:13], v[31:32], v[22:23]
	v_add_f64 v[22:23], v[35:36], v[8:9]
	v_add_f64 v[29:30], v[0:1], v[18:19]
	v_add_f64 v[37:38], v[16:17], -v[6:7]
	v_add_f64 v[6:7], v[6:7], v[16:17]
	v_add_f64 v[0:1], v[18:19], -v[0:1]
	v_add_f64 v[8:9], v[8:9], -v[35:36]
	;; [unrolled: 1-line block ×4, first 2 shown]
	v_add_f64 v[16:17], v[4:5], v[12:13]
	v_add_f64 v[18:19], v[12:13], -v[4:5]
	v_add_f64 v[24:25], v[2:3], v[24:25]
	ds_write2_b64 v55, v[10:11], v[22:23] offset1:25
	ds_write2_b64 v55, v[29:30], v[37:38] offset0:50 offset1:75
	ds_write2_b64 v55, v[6:7], v[0:1] offset0:100 offset1:125
	ds_write_b64 v55, v[8:9] offset:1200
	s_waitcnt lgkmcnt(0)
	s_barrier
	ds_read_b64 v[10:11], v64 offset:8400
	ds_read_b64 v[8:9], v64
	ds_read_b64 v[12:13], v20 offset:1400
	ds_read2_b64 v[4:7], v21 offset0:30 offset1:205
	ds_read2_b64 v[0:3], v26 offset0:60 offset1:235
	v_add_f64 v[14:15], v[33:34], v[14:15]
	s_waitcnt lgkmcnt(0)
	s_barrier
	ds_write2_b64 v55, v[45:46], v[27:28] offset1:25
	ds_write2_b64 v55, v[31:32], v[16:17] offset0:50 offset1:75
	ds_write2_b64 v55, v[18:19], v[24:25] offset0:100 offset1:125
	ds_write_b64 v55, v[14:15] offset:1200
	s_waitcnt lgkmcnt(0)
	s_barrier
	s_and_saveexec_b64 s[28:29], vcc
	s_cbranch_execz .LBB0_29
; %bb.28:
	v_mul_u32_u24_e32 v14, 6, v63
	v_lshlrev_b32_e32 v18, 4, v14
	global_load_dwordx4 v[14:17], v18, s[12:13] offset:2752
	global_load_dwordx4 v[21:24], v18, s[12:13] offset:2736
	global_load_dwordx4 v[25:28], v18, s[12:13] offset:2768
	global_load_dwordx4 v[29:32], v18, s[12:13] offset:2784
	global_load_dwordx4 v[33:36], v18, s[12:13] offset:2720
	global_load_dwordx4 v[37:40], v18, s[12:13] offset:2800
	v_mul_lo_u32 v63, s5, v58
	v_mul_lo_u32 v65, s4, v59
	v_mad_u64_u32 v[18:19], s[4:5], s4, v58, 0
	v_add_u32_e32 v41, 0x1400, v64
	v_add_u32_e32 v45, 0xa00, v64
	v_mad_u64_u32 v[58:59], s[4:5], s2, v62, 0
	ds_read_b64 v[49:50], v20 offset:1400
	ds_read_b64 v[51:52], v64 offset:8400
	ds_read_b64 v[53:54], v64
	ds_read2_b64 v[41:44], v41 offset0:60 offset1:235
	ds_read2_b64 v[45:48], v45 offset0:30 offset1:205
	v_add3_u32 v19, v19, v65, v63
	v_lshlrev_b64 v[18:19], 4, v[18:19]
	v_mov_b32_e32 v20, v59
	v_mov_b32_e32 v66, s11
	v_add_co_u32_e32 v59, vcc, s10, v18
	v_addc_co_u32_e32 v74, vcc, v66, v19, vcc
	v_lshlrev_b64 v[55:56], 4, v[56:57]
	v_add_u32_e32 v57, 0xaf, v62
	v_mad_u64_u32 v[60:61], s[4:5], s2, v57, 0
	s_waitcnt vmcnt(5) lgkmcnt(0)
	v_mul_f64 v[18:19], v[47:48], v[16:17]
	s_waitcnt vmcnt(4)
	v_mad_u64_u32 v[63:64], s[4:5], s3, v62, v[20:21]
	v_mul_f64 v[64:65], v[45:46], v[23:24]
	s_waitcnt vmcnt(3)
	v_mul_f64 v[66:67], v[41:42], v[27:28]
	s_waitcnt vmcnt(2)
	;; [unrolled: 2-line block ×4, first 2 shown]
	v_mul_f64 v[72:73], v[51:52], v[39:40]
	v_mul_f64 v[16:17], v[6:7], v[16:17]
	;; [unrolled: 1-line block ×3, first 2 shown]
	v_fma_f64 v[6:7], v[6:7], v[14:15], -v[18:19]
	v_fma_f64 v[18:19], v[4:5], v[21:22], -v[64:65]
	v_mul_f64 v[4:5], v[4:5], v[23:24]
	v_mul_f64 v[23:24], v[2:3], v[31:32]
	v_mul_f64 v[31:32], v[12:13], v[35:36]
	v_mul_f64 v[35:36], v[10:11], v[39:40]
	v_fma_f64 v[0:1], v[0:1], v[25:26], -v[66:67]
	v_fma_f64 v[2:3], v[2:3], v[29:30], -v[68:69]
	;; [unrolled: 1-line block ×4, first 2 shown]
	v_fma_f64 v[14:15], v[14:15], v[47:48], v[16:17]
	v_fma_f64 v[16:17], v[25:26], v[41:42], v[27:28]
	;; [unrolled: 1-line block ×6, first 2 shown]
	v_add_f64 v[26:27], v[0:1], -v[6:7]
	v_add_f64 v[28:29], v[18:19], -v[2:3]
	v_add_f64 v[0:1], v[0:1], v[6:7]
	v_add_f64 v[2:3], v[18:19], v[2:3]
	v_add_f64 v[6:7], v[12:13], v[10:11]
	v_add_f64 v[34:35], v[4:5], v[20:21]
	v_add_f64 v[30:31], v[12:13], -v[10:11]
	v_add_f64 v[36:37], v[22:23], v[24:25]
	v_add_f64 v[32:33], v[16:17], v[14:15]
	v_add_f64 v[10:11], v[16:17], -v[14:15]
	v_add_f64 v[4:5], v[4:5], -v[20:21]
	;; [unrolled: 1-line block ×4, first 2 shown]
	v_add_f64 v[40:41], v[2:3], v[6:7]
	v_add_f64 v[14:15], v[26:27], v[28:29]
	v_add_f64 v[24:25], v[34:35], v[36:37]
	v_add_f64 v[16:17], v[26:27], -v[28:29]
	v_add_f64 v[18:19], v[30:31], -v[26:27]
	;; [unrolled: 1-line block ×5, first 2 shown]
	v_add_f64 v[42:43], v[10:11], v[4:5]
	v_add_f64 v[44:45], v[10:11], -v[4:5]
	v_add_f64 v[28:29], v[28:29], -v[30:31]
	;; [unrolled: 1-line block ×4, first 2 shown]
	v_add_f64 v[24:25], v[32:33], v[24:25]
	v_mul_f64 v[36:37], v[38:39], s[6:7]
	v_add_f64 v[38:39], v[0:1], v[40:41]
	v_add_f64 v[10:11], v[12:13], -v[10:11]
	v_add_f64 v[6:7], v[2:3], -v[6:7]
	v_add_f64 v[14:15], v[14:15], v[30:31]
	v_mul_f64 v[16:17], v[16:17], s[16:17]
	v_mul_f64 v[30:31], v[20:21], s[0:1]
	;; [unrolled: 1-line block ×4, first 2 shown]
	v_add_f64 v[12:13], v[42:43], v[12:13]
	v_mul_f64 v[40:41], v[44:45], s[16:17]
	v_mul_f64 v[42:43], v[28:29], s[8:9]
	;; [unrolled: 1-line block ×3, first 2 shown]
	v_add_f64 v[2:3], v[53:54], v[24:25]
	v_add_f64 v[0:1], v[8:9], v[38:39]
	v_fma_f64 v[46:47], v[18:19], s[22:23], v[16:17]
	v_fma_f64 v[20:21], v[20:21], s[0:1], v[22:23]
	;; [unrolled: 1-line block ×4, first 2 shown]
	v_fma_f64 v[18:19], v[18:19], s[26:27], -v[42:43]
	v_fma_f64 v[22:23], v[34:35], s[20:21], -v[22:23]
	;; [unrolled: 1-line block ×8, first 2 shown]
	v_fma_f64 v[24:25], v[24:25], s[14:15], v[2:3]
	v_fma_f64 v[28:29], v[38:39], s[14:15], v[0:1]
	;; [unrolled: 1-line block ×8, first 2 shown]
	v_add_f64 v[44:45], v[20:21], v[24:25]
	v_add_f64 v[46:47], v[26:27], v[28:29]
	v_add_f64 v[20:21], v[22:23], v[24:25]
	v_add_f64 v[26:27], v[36:37], v[28:29]
	v_add_f64 v[18:19], v[30:31], v[24:25]
	v_add_f64 v[22:23], v[6:7], v[28:29]
	v_mov_b32_e32 v30, v61
	v_add_co_u32_e32 v48, vcc, v59, v55
	v_mov_b32_e32 v59, v63
	v_add_f64 v[6:7], v[32:33], v[44:45]
	v_add_f64 v[10:11], v[38:39], v[20:21]
	v_add_f64 v[8:9], v[26:27], -v[40:41]
	v_add_f64 v[14:15], v[18:19], -v[16:17]
	v_add_f64 v[12:13], v[42:43], v[22:23]
	v_add_f64 v[18:19], v[16:17], v[18:19]
	v_add_f64 v[16:17], v[22:23], -v[42:43]
	v_add_f64 v[22:23], v[20:21], -v[38:39]
	v_add_f64 v[20:21], v[40:41], v[26:27]
	v_add_f64 v[26:27], v[44:45], -v[32:33]
	v_mad_u64_u32 v[30:31], s[0:1], s3, v57, v[30:31]
	v_add_u32_e32 v33, 0x15e, v62
	v_lshlrev_b64 v[28:29], 4, v[58:59]
	v_add_f64 v[24:25], v[34:35], v[46:47]
	v_mad_u64_u32 v[31:32], s[0:1], s2, v33, 0
	v_addc_co_u32_e32 v49, vcc, v74, v56, vcc
	v_add_co_u32_e32 v28, vcc, v48, v28
	v_addc_co_u32_e32 v29, vcc, v49, v29, vcc
	v_mov_b32_e32 v61, v30
	global_store_dwordx4 v[28:29], v[0:3], off
	v_add_f64 v[4:5], v[46:47], -v[34:35]
	v_lshlrev_b64 v[0:1], 4, v[60:61]
	v_mov_b32_e32 v2, v32
	v_mad_u64_u32 v[2:3], s[0:1], s3, v33, v[2:3]
	v_add_co_u32_e32 v0, vcc, v48, v0
	v_addc_co_u32_e32 v1, vcc, v49, v1, vcc
	global_store_dwordx4 v[0:1], v[24:27], off
	v_mov_b32_e32 v32, v2
	v_add_u32_e32 v24, 0x20d, v62
	v_mad_u64_u32 v[2:3], s[0:1], s2, v24, 0
	v_add_u32_e32 v27, 0x2bc, v62
	v_lshlrev_b64 v[0:1], 4, v[31:32]
	v_mad_u64_u32 v[24:25], s[0:1], s3, v24, v[3:4]
	v_mad_u64_u32 v[25:26], s[0:1], s2, v27, 0
	v_add_co_u32_e32 v0, vcc, v48, v0
	v_addc_co_u32_e32 v1, vcc, v49, v1, vcc
	v_mov_b32_e32 v3, v24
	global_store_dwordx4 v[0:1], v[20:23], off
	v_lshlrev_b64 v[0:1], 4, v[2:3]
	v_mov_b32_e32 v2, v26
	v_mad_u64_u32 v[2:3], s[0:1], s3, v27, v[2:3]
	v_add_co_u32_e32 v0, vcc, v48, v0
	v_addc_co_u32_e32 v1, vcc, v49, v1, vcc
	global_store_dwordx4 v[0:1], v[16:19], off
	v_mov_b32_e32 v26, v2
	v_add_u32_e32 v16, 0x36b, v62
	v_mad_u64_u32 v[2:3], s[0:1], s2, v16, 0
	v_add_u32_e32 v19, 0x41a, v62
	v_lshlrev_b64 v[0:1], 4, v[25:26]
	v_mad_u64_u32 v[16:17], s[0:1], s3, v16, v[3:4]
	v_mad_u64_u32 v[17:18], s[0:1], s2, v19, 0
	v_add_co_u32_e32 v0, vcc, v48, v0
	v_addc_co_u32_e32 v1, vcc, v49, v1, vcc
	v_mov_b32_e32 v3, v16
	global_store_dwordx4 v[0:1], v[12:15], off
	v_lshlrev_b64 v[0:1], 4, v[2:3]
	v_mov_b32_e32 v2, v18
	v_mad_u64_u32 v[2:3], s[0:1], s3, v19, v[2:3]
	v_add_co_u32_e32 v0, vcc, v48, v0
	v_addc_co_u32_e32 v1, vcc, v49, v1, vcc
	v_mov_b32_e32 v18, v2
	global_store_dwordx4 v[0:1], v[8:11], off
	v_lshlrev_b64 v[0:1], 4, v[17:18]
	v_add_co_u32_e32 v0, vcc, v48, v0
	v_addc_co_u32_e32 v1, vcc, v49, v1, vcc
	global_store_dwordx4 v[0:1], v[4:7], off
.LBB0_29:
	s_endpgm
	.section	.rodata,"a",@progbits
	.p2align	6, 0x0
	.amdhsa_kernel fft_rtc_fwd_len1225_factors_5_5_7_7_wgs_175_tpt_175_halfLds_dp_op_CI_CI_sbrr_dirReg
		.amdhsa_group_segment_fixed_size 0
		.amdhsa_private_segment_fixed_size 0
		.amdhsa_kernarg_size 104
		.amdhsa_user_sgpr_count 6
		.amdhsa_user_sgpr_private_segment_buffer 1
		.amdhsa_user_sgpr_dispatch_ptr 0
		.amdhsa_user_sgpr_queue_ptr 0
		.amdhsa_user_sgpr_kernarg_segment_ptr 1
		.amdhsa_user_sgpr_dispatch_id 0
		.amdhsa_user_sgpr_flat_scratch_init 0
		.amdhsa_user_sgpr_private_segment_size 0
		.amdhsa_uses_dynamic_stack 0
		.amdhsa_system_sgpr_private_segment_wavefront_offset 0
		.amdhsa_system_sgpr_workgroup_id_x 1
		.amdhsa_system_sgpr_workgroup_id_y 0
		.amdhsa_system_sgpr_workgroup_id_z 0
		.amdhsa_system_sgpr_workgroup_info 0
		.amdhsa_system_vgpr_workitem_id 0
		.amdhsa_next_free_vgpr 89
		.amdhsa_next_free_sgpr 32
		.amdhsa_reserve_vcc 1
		.amdhsa_reserve_flat_scratch 0
		.amdhsa_float_round_mode_32 0
		.amdhsa_float_round_mode_16_64 0
		.amdhsa_float_denorm_mode_32 3
		.amdhsa_float_denorm_mode_16_64 3
		.amdhsa_dx10_clamp 1
		.amdhsa_ieee_mode 1
		.amdhsa_fp16_overflow 0
		.amdhsa_exception_fp_ieee_invalid_op 0
		.amdhsa_exception_fp_denorm_src 0
		.amdhsa_exception_fp_ieee_div_zero 0
		.amdhsa_exception_fp_ieee_overflow 0
		.amdhsa_exception_fp_ieee_underflow 0
		.amdhsa_exception_fp_ieee_inexact 0
		.amdhsa_exception_int_div_zero 0
	.end_amdhsa_kernel
	.text
.Lfunc_end0:
	.size	fft_rtc_fwd_len1225_factors_5_5_7_7_wgs_175_tpt_175_halfLds_dp_op_CI_CI_sbrr_dirReg, .Lfunc_end0-fft_rtc_fwd_len1225_factors_5_5_7_7_wgs_175_tpt_175_halfLds_dp_op_CI_CI_sbrr_dirReg
                                        ; -- End function
	.section	.AMDGPU.csdata,"",@progbits
; Kernel info:
; codeLenInByte = 7844
; NumSgprs: 36
; NumVgprs: 89
; ScratchSize: 0
; MemoryBound: 1
; FloatMode: 240
; IeeeMode: 1
; LDSByteSize: 0 bytes/workgroup (compile time only)
; SGPRBlocks: 4
; VGPRBlocks: 22
; NumSGPRsForWavesPerEU: 36
; NumVGPRsForWavesPerEU: 89
; Occupancy: 2
; WaveLimiterHint : 1
; COMPUTE_PGM_RSRC2:SCRATCH_EN: 0
; COMPUTE_PGM_RSRC2:USER_SGPR: 6
; COMPUTE_PGM_RSRC2:TRAP_HANDLER: 0
; COMPUTE_PGM_RSRC2:TGID_X_EN: 1
; COMPUTE_PGM_RSRC2:TGID_Y_EN: 0
; COMPUTE_PGM_RSRC2:TGID_Z_EN: 0
; COMPUTE_PGM_RSRC2:TIDIG_COMP_CNT: 0
	.type	__hip_cuid_f3bfb831f32b35d9,@object ; @__hip_cuid_f3bfb831f32b35d9
	.section	.bss,"aw",@nobits
	.globl	__hip_cuid_f3bfb831f32b35d9
__hip_cuid_f3bfb831f32b35d9:
	.byte	0                               ; 0x0
	.size	__hip_cuid_f3bfb831f32b35d9, 1

	.ident	"AMD clang version 19.0.0git (https://github.com/RadeonOpenCompute/llvm-project roc-6.4.0 25133 c7fe45cf4b819c5991fe208aaa96edf142730f1d)"
	.section	".note.GNU-stack","",@progbits
	.addrsig
	.addrsig_sym __hip_cuid_f3bfb831f32b35d9
	.amdgpu_metadata
---
amdhsa.kernels:
  - .args:
      - .actual_access:  read_only
        .address_space:  global
        .offset:         0
        .size:           8
        .value_kind:     global_buffer
      - .offset:         8
        .size:           8
        .value_kind:     by_value
      - .actual_access:  read_only
        .address_space:  global
        .offset:         16
        .size:           8
        .value_kind:     global_buffer
      - .actual_access:  read_only
        .address_space:  global
        .offset:         24
        .size:           8
        .value_kind:     global_buffer
      - .actual_access:  read_only
        .address_space:  global
        .offset:         32
        .size:           8
        .value_kind:     global_buffer
      - .offset:         40
        .size:           8
        .value_kind:     by_value
      - .actual_access:  read_only
        .address_space:  global
        .offset:         48
        .size:           8
        .value_kind:     global_buffer
      - .actual_access:  read_only
        .address_space:  global
        .offset:         56
        .size:           8
        .value_kind:     global_buffer
      - .offset:         64
        .size:           4
        .value_kind:     by_value
      - .actual_access:  read_only
        .address_space:  global
        .offset:         72
        .size:           8
        .value_kind:     global_buffer
      - .actual_access:  read_only
        .address_space:  global
        .offset:         80
        .size:           8
        .value_kind:     global_buffer
      - .actual_access:  read_only
        .address_space:  global
        .offset:         88
        .size:           8
        .value_kind:     global_buffer
      - .actual_access:  write_only
        .address_space:  global
        .offset:         96
        .size:           8
        .value_kind:     global_buffer
    .group_segment_fixed_size: 0
    .kernarg_segment_align: 8
    .kernarg_segment_size: 104
    .language:       OpenCL C
    .language_version:
      - 2
      - 0
    .max_flat_workgroup_size: 175
    .name:           fft_rtc_fwd_len1225_factors_5_5_7_7_wgs_175_tpt_175_halfLds_dp_op_CI_CI_sbrr_dirReg
    .private_segment_fixed_size: 0
    .sgpr_count:     36
    .sgpr_spill_count: 0
    .symbol:         fft_rtc_fwd_len1225_factors_5_5_7_7_wgs_175_tpt_175_halfLds_dp_op_CI_CI_sbrr_dirReg.kd
    .uniform_work_group_size: 1
    .uses_dynamic_stack: false
    .vgpr_count:     89
    .vgpr_spill_count: 0
    .wavefront_size: 64
amdhsa.target:   amdgcn-amd-amdhsa--gfx906
amdhsa.version:
  - 1
  - 2
...

	.end_amdgpu_metadata
